;; amdgpu-corpus repo=ROCm/rocFFT kind=compiled arch=gfx1030 opt=O3
	.text
	.amdgcn_target "amdgcn-amd-amdhsa--gfx1030"
	.amdhsa_code_object_version 6
	.protected	fft_rtc_fwd_len968_factors_2_2_2_11_11_wgs_176_tpt_88_dp_op_CI_CI_unitstride_sbrr_R2C_dirReg ; -- Begin function fft_rtc_fwd_len968_factors_2_2_2_11_11_wgs_176_tpt_88_dp_op_CI_CI_unitstride_sbrr_R2C_dirReg
	.globl	fft_rtc_fwd_len968_factors_2_2_2_11_11_wgs_176_tpt_88_dp_op_CI_CI_unitstride_sbrr_R2C_dirReg
	.p2align	8
	.type	fft_rtc_fwd_len968_factors_2_2_2_11_11_wgs_176_tpt_88_dp_op_CI_CI_unitstride_sbrr_R2C_dirReg,@function
fft_rtc_fwd_len968_factors_2_2_2_11_11_wgs_176_tpt_88_dp_op_CI_CI_unitstride_sbrr_R2C_dirReg: ; @fft_rtc_fwd_len968_factors_2_2_2_11_11_wgs_176_tpt_88_dp_op_CI_CI_unitstride_sbrr_R2C_dirReg
; %bb.0:
	s_clause 0x2
	s_load_dwordx4 s[12:15], s[4:5], 0x0
	s_load_dwordx4 s[8:11], s[4:5], 0x58
	;; [unrolled: 1-line block ×3, first 2 shown]
	v_mul_u32_u24_e32 v1, 0x2e9, v0
	v_mov_b32_e32 v3, 0
	s_mov_b64 s[42:43], s[2:3]
	s_mov_b64 s[40:41], s[0:1]
	v_lshrrev_b32_e32 v7, 16, v1
	v_mov_b32_e32 v1, 0
	v_mov_b32_e32 v6, v3
	;; [unrolled: 1-line block ×3, first 2 shown]
	s_add_u32 s40, s40, s7
	v_lshl_add_u32 v5, s6, 1, v7
	s_addc_u32 s41, s41, 0
	s_waitcnt lgkmcnt(0)
	v_cmp_lt_u64_e64 s0, s[14:15], 2
	s_and_b32 vcc_lo, exec_lo, s0
	s_cbranch_vccnz .LBB0_8
; %bb.1:
	s_load_dwordx2 s[0:1], s[4:5], 0x10
	v_mov_b32_e32 v1, 0
	v_mov_b32_e32 v2, 0
	s_add_u32 s2, s18, 8
	s_addc_u32 s3, s19, 0
	s_add_u32 s6, s16, 8
	s_addc_u32 s7, s17, 0
	v_mov_b32_e32 v53, v2
	v_mov_b32_e32 v52, v1
	s_mov_b64 s[22:23], 1
	s_waitcnt lgkmcnt(0)
	s_add_u32 s20, s0, 8
	s_addc_u32 s21, s1, 0
.LBB0_2:                                ; =>This Inner Loop Header: Depth=1
	s_load_dwordx2 s[24:25], s[20:21], 0x0
                                        ; implicit-def: $vgpr56_vgpr57
	s_mov_b32 s0, exec_lo
	s_waitcnt lgkmcnt(0)
	v_or_b32_e32 v4, s25, v6
	v_cmpx_ne_u64_e32 0, v[3:4]
	s_xor_b32 s1, exec_lo, s0
	s_cbranch_execz .LBB0_4
; %bb.3:                                ;   in Loop: Header=BB0_2 Depth=1
	v_cvt_f32_u32_e32 v4, s24
	v_cvt_f32_u32_e32 v8, s25
	s_sub_u32 s0, 0, s24
	s_subb_u32 s26, 0, s25
	v_fmac_f32_e32 v4, 0x4f800000, v8
	v_rcp_f32_e32 v4, v4
	v_mul_f32_e32 v4, 0x5f7ffffc, v4
	v_mul_f32_e32 v8, 0x2f800000, v4
	v_trunc_f32_e32 v8, v8
	v_fmac_f32_e32 v4, 0xcf800000, v8
	v_cvt_u32_f32_e32 v8, v8
	v_cvt_u32_f32_e32 v4, v4
	v_mul_lo_u32 v9, s0, v8
	v_mul_hi_u32 v10, s0, v4
	v_mul_lo_u32 v11, s26, v4
	v_add_nc_u32_e32 v9, v10, v9
	v_mul_lo_u32 v10, s0, v4
	v_add_nc_u32_e32 v9, v9, v11
	v_mul_hi_u32 v11, v4, v10
	v_mul_lo_u32 v12, v4, v9
	v_mul_hi_u32 v13, v4, v9
	v_mul_hi_u32 v14, v8, v10
	v_mul_lo_u32 v10, v8, v10
	v_mul_hi_u32 v15, v8, v9
	v_mul_lo_u32 v9, v8, v9
	v_add_co_u32 v11, vcc_lo, v11, v12
	v_add_co_ci_u32_e32 v12, vcc_lo, 0, v13, vcc_lo
	v_add_co_u32 v10, vcc_lo, v11, v10
	v_add_co_ci_u32_e32 v10, vcc_lo, v12, v14, vcc_lo
	v_add_co_ci_u32_e32 v11, vcc_lo, 0, v15, vcc_lo
	v_add_co_u32 v9, vcc_lo, v10, v9
	v_add_co_ci_u32_e32 v10, vcc_lo, 0, v11, vcc_lo
	v_add_co_u32 v4, vcc_lo, v4, v9
	v_add_co_ci_u32_e32 v8, vcc_lo, v8, v10, vcc_lo
	v_mul_hi_u32 v9, s0, v4
	v_mul_lo_u32 v11, s26, v4
	v_mul_lo_u32 v10, s0, v8
	v_add_nc_u32_e32 v9, v9, v10
	v_mul_lo_u32 v10, s0, v4
	v_add_nc_u32_e32 v9, v9, v11
	v_mul_hi_u32 v11, v4, v10
	v_mul_lo_u32 v12, v4, v9
	v_mul_hi_u32 v13, v4, v9
	v_mul_hi_u32 v14, v8, v10
	v_mul_lo_u32 v10, v8, v10
	v_mul_hi_u32 v15, v8, v9
	v_mul_lo_u32 v9, v8, v9
	v_add_co_u32 v11, vcc_lo, v11, v12
	v_add_co_ci_u32_e32 v12, vcc_lo, 0, v13, vcc_lo
	v_add_co_u32 v10, vcc_lo, v11, v10
	v_add_co_ci_u32_e32 v10, vcc_lo, v12, v14, vcc_lo
	v_add_co_ci_u32_e32 v11, vcc_lo, 0, v15, vcc_lo
	v_add_co_u32 v9, vcc_lo, v10, v9
	v_add_co_ci_u32_e32 v10, vcc_lo, 0, v11, vcc_lo
	v_add_co_u32 v4, vcc_lo, v4, v9
	v_add_co_ci_u32_e32 v12, vcc_lo, v8, v10, vcc_lo
	v_mul_hi_u32 v14, v5, v4
	v_mad_u64_u32 v[10:11], null, v6, v4, 0
	v_mad_u64_u32 v[8:9], null, v5, v12, 0
	;; [unrolled: 1-line block ×3, first 2 shown]
	v_add_co_u32 v4, vcc_lo, v14, v8
	v_add_co_ci_u32_e32 v8, vcc_lo, 0, v9, vcc_lo
	v_add_co_u32 v4, vcc_lo, v4, v10
	v_add_co_ci_u32_e32 v4, vcc_lo, v8, v11, vcc_lo
	v_add_co_ci_u32_e32 v8, vcc_lo, 0, v13, vcc_lo
	v_add_co_u32 v4, vcc_lo, v4, v12
	v_add_co_ci_u32_e32 v10, vcc_lo, 0, v8, vcc_lo
	v_mul_lo_u32 v11, s25, v4
	v_mad_u64_u32 v[8:9], null, s24, v4, 0
	v_mul_lo_u32 v12, s24, v10
	v_sub_co_u32 v8, vcc_lo, v5, v8
	v_add3_u32 v9, v9, v12, v11
	v_sub_nc_u32_e32 v11, v6, v9
	v_subrev_co_ci_u32_e64 v11, s0, s25, v11, vcc_lo
	v_add_co_u32 v12, s0, v4, 2
	v_add_co_ci_u32_e64 v13, s0, 0, v10, s0
	v_sub_co_u32 v14, s0, v8, s24
	v_sub_co_ci_u32_e32 v9, vcc_lo, v6, v9, vcc_lo
	v_subrev_co_ci_u32_e64 v11, s0, 0, v11, s0
	v_cmp_le_u32_e32 vcc_lo, s24, v14
	v_cmp_eq_u32_e64 s0, s25, v9
	v_cndmask_b32_e64 v14, 0, -1, vcc_lo
	v_cmp_le_u32_e32 vcc_lo, s25, v11
	v_cndmask_b32_e64 v15, 0, -1, vcc_lo
	v_cmp_le_u32_e32 vcc_lo, s24, v8
	v_cndmask_b32_e64 v8, 0, -1, vcc_lo
	v_cmp_le_u32_e32 vcc_lo, s25, v9
	v_cndmask_b32_e64 v16, 0, -1, vcc_lo
	v_cmp_eq_u32_e32 vcc_lo, s25, v11
	v_cndmask_b32_e64 v8, v16, v8, s0
	v_cndmask_b32_e32 v11, v15, v14, vcc_lo
	v_add_co_u32 v14, vcc_lo, v4, 1
	v_add_co_ci_u32_e32 v15, vcc_lo, 0, v10, vcc_lo
	v_cmp_ne_u32_e32 vcc_lo, 0, v11
	v_cndmask_b32_e32 v9, v15, v13, vcc_lo
	v_cndmask_b32_e32 v11, v14, v12, vcc_lo
	v_cmp_ne_u32_e32 vcc_lo, 0, v8
	v_cndmask_b32_e32 v57, v10, v9, vcc_lo
	v_cndmask_b32_e32 v56, v4, v11, vcc_lo
.LBB0_4:                                ;   in Loop: Header=BB0_2 Depth=1
	s_andn2_saveexec_b32 s0, s1
	s_cbranch_execz .LBB0_6
; %bb.5:                                ;   in Loop: Header=BB0_2 Depth=1
	v_cvt_f32_u32_e32 v4, s24
	s_sub_i32 s1, 0, s24
	v_mov_b32_e32 v57, v3
	v_rcp_iflag_f32_e32 v4, v4
	v_mul_f32_e32 v4, 0x4f7ffffe, v4
	v_cvt_u32_f32_e32 v4, v4
	v_mul_lo_u32 v8, s1, v4
	v_mul_hi_u32 v8, v4, v8
	v_add_nc_u32_e32 v4, v4, v8
	v_mul_hi_u32 v4, v5, v4
	v_mul_lo_u32 v8, v4, s24
	v_add_nc_u32_e32 v9, 1, v4
	v_sub_nc_u32_e32 v8, v5, v8
	v_subrev_nc_u32_e32 v10, s24, v8
	v_cmp_le_u32_e32 vcc_lo, s24, v8
	v_cndmask_b32_e32 v8, v8, v10, vcc_lo
	v_cndmask_b32_e32 v4, v4, v9, vcc_lo
	v_cmp_le_u32_e32 vcc_lo, s24, v8
	v_add_nc_u32_e32 v9, 1, v4
	v_cndmask_b32_e32 v56, v4, v9, vcc_lo
.LBB0_6:                                ;   in Loop: Header=BB0_2 Depth=1
	s_or_b32 exec_lo, exec_lo, s0
	v_mul_lo_u32 v4, v57, s24
	v_mul_lo_u32 v10, v56, s25
	s_load_dwordx2 s[0:1], s[6:7], 0x0
	v_mad_u64_u32 v[8:9], null, v56, s24, 0
	s_load_dwordx2 s[24:25], s[2:3], 0x0
	s_add_u32 s22, s22, 1
	s_addc_u32 s23, s23, 0
	s_add_u32 s2, s2, 8
	s_addc_u32 s3, s3, 0
	s_add_u32 s6, s6, 8
	v_add3_u32 v4, v9, v10, v4
	v_sub_co_u32 v5, vcc_lo, v5, v8
	s_addc_u32 s7, s7, 0
	s_add_u32 s20, s20, 8
	v_sub_co_ci_u32_e32 v4, vcc_lo, v6, v4, vcc_lo
	s_addc_u32 s21, s21, 0
	s_waitcnt lgkmcnt(0)
	v_mul_lo_u32 v6, s0, v4
	v_mul_lo_u32 v8, s1, v5
	v_mad_u64_u32 v[1:2], null, s0, v5, v[1:2]
	v_mul_lo_u32 v4, s24, v4
	v_mul_lo_u32 v9, s25, v5
	v_mad_u64_u32 v[52:53], null, s24, v5, v[52:53]
	v_cmp_ge_u64_e64 s0, s[22:23], s[14:15]
	v_add3_u32 v2, v8, v2, v6
	v_add3_u32 v53, v9, v53, v4
	s_and_b32 vcc_lo, exec_lo, s0
	s_cbranch_vccnz .LBB0_9
; %bb.7:                                ;   in Loop: Header=BB0_2 Depth=1
	v_mov_b32_e32 v5, v56
	v_mov_b32_e32 v6, v57
	s_branch .LBB0_2
.LBB0_8:
	v_mov_b32_e32 v53, v2
	v_mov_b32_e32 v57, v6
	;; [unrolled: 1-line block ×4, first 2 shown]
.LBB0_9:
	s_load_dwordx2 s[0:1], s[4:5], 0x28
	v_and_b32_e32 v4, 1, v7
	v_mul_hi_u32 v3, 0x2e8ba2f, v0
	s_lshl_b64 s[4:5], s[14:15], 3
                                        ; implicit-def: $vgpr54
                                        ; implicit-def: $vgpr59
                                        ; implicit-def: $vgpr65
                                        ; implicit-def: $vgpr63
                                        ; implicit-def: $vgpr61
                                        ; implicit-def: $vgpr58
	s_add_u32 s2, s18, s4
	s_addc_u32 s3, s19, s5
	s_waitcnt lgkmcnt(0)
	v_cmp_gt_u64_e32 vcc_lo, s[0:1], v[56:57]
	v_cmp_le_u64_e64 s1, s[0:1], v[56:57]
	v_cmp_eq_u32_e64 s0, 1, v4
	s_and_saveexec_b32 s6, s1
	s_xor_b32 s1, exec_lo, s6
; %bb.10:
	v_mul_u32_u24_e32 v1, 0x58, v3
                                        ; implicit-def: $vgpr3
	v_sub_nc_u32_e32 v54, v0, v1
                                        ; implicit-def: $vgpr0
                                        ; implicit-def: $vgpr1_vgpr2
	v_add_nc_u32_e32 v59, 0x58, v54
	v_add_nc_u32_e32 v65, 0xb0, v54
	v_add_nc_u32_e32 v63, 0x108, v54
	v_add_nc_u32_e32 v61, 0x160, v54
	v_add_nc_u32_e32 v58, 0x1b8, v54
; %bb.11:
	s_or_saveexec_b32 s1, s1
	v_cndmask_b32_e64 v4, 0, 0x3c9, s0
	v_lshlrev_b32_e32 v64, 4, v4
	s_xor_b32 exec_lo, exec_lo, s1
	s_cbranch_execz .LBB0_13
; %bb.12:
	s_add_u32 s4, s16, s4
	s_addc_u32 s5, s17, s5
	v_lshlrev_b64 v[1:2], 4, v[1:2]
	s_load_dwordx2 s[4:5], s[4:5], 0x0
	s_waitcnt lgkmcnt(0)
	v_mul_lo_u32 v6, s5, v56
	v_mul_lo_u32 v7, s4, v57
	v_mad_u64_u32 v[4:5], null, s4, v56, 0
	v_add3_u32 v5, v5, v7, v6
	v_mul_u32_u24_e32 v6, 0x58, v3
	v_lshlrev_b64 v[3:4], 4, v[4:5]
	v_sub_nc_u32_e32 v54, v0, v6
	v_lshlrev_b32_e32 v44, 4, v54
	v_add_co_u32 v0, s0, s8, v3
	v_add_co_ci_u32_e64 v3, s0, s9, v4, s0
	v_add_nc_u32_e32 v59, 0x58, v54
	v_add_co_u32 v0, s0, v0, v1
	v_add_co_ci_u32_e64 v1, s0, v3, v2, s0
	v_add_nc_u32_e32 v65, 0xb0, v54
	v_add_co_u32 v8, s0, v0, v44
	v_add_co_ci_u32_e64 v9, s0, 0, v1, s0
	s_clause 0x1
	global_load_dwordx4 v[0:3], v[8:9], off
	global_load_dwordx4 v[4:7], v[8:9], off offset:1408
	v_add_co_u32 v10, s0, 0x800, v8
	v_add_co_ci_u32_e64 v11, s0, 0, v9, s0
	v_add_co_u32 v16, s0, 0x1000, v8
	v_add_co_ci_u32_e64 v17, s0, 0, v9, s0
	v_add_co_u32 v20, s0, 0x1800, v8
	v_add_co_ci_u32_e64 v21, s0, 0, v9, s0
	v_add_co_u32 v28, s0, 0x2000, v8
	v_add_co_ci_u32_e64 v29, s0, 0, v9, s0
	v_add_co_u32 v32, s0, 0x2800, v8
	v_add_co_ci_u32_e64 v33, s0, 0, v9, s0
	v_add_co_u32 v40, s0, 0x3000, v8
	v_add_co_ci_u32_e64 v41, s0, 0, v9, s0
	s_clause 0x8
	global_load_dwordx4 v[8:11], v[10:11], off offset:768
	global_load_dwordx4 v[12:15], v[16:17], off offset:128
	;; [unrolled: 1-line block ×9, first 2 shown]
	v_add3_u32 v44, 0, v64, v44
	v_add_nc_u32_e32 v63, 0x108, v54
	v_add_nc_u32_e32 v61, 0x160, v54
	;; [unrolled: 1-line block ×3, first 2 shown]
	s_waitcnt vmcnt(10)
	ds_write_b128 v44, v[0:3]
	s_waitcnt vmcnt(9)
	ds_write_b128 v44, v[4:7] offset:1408
	s_waitcnt vmcnt(8)
	ds_write_b128 v44, v[8:11] offset:2816
	;; [unrolled: 2-line block ×10, first 2 shown]
.LBB0_13:
	s_or_b32 exec_lo, exec_lo, s1
	v_lshlrev_b32_e32 v50, 4, v54
	v_add_nc_u32_e32 v182, 0, v64
	s_load_dwordx2 s[2:3], s[2:3], 0x0
	s_waitcnt lgkmcnt(0)
	s_barrier
	v_add3_u32 v60, 0, v50, v64
	v_add_nc_u32_e32 v62, v182, v50
	buffer_gl0_inv
	v_lshl_add_u32 v8, v59, 5, 0
	v_lshl_add_u32 v9, v65, 5, 0
	ds_read_b128 v[0:3], v60 offset:7744
	ds_read_b128 v[4:7], v62
	ds_read_b128 v[10:13], v60 offset:1408
	ds_read_b128 v[14:17], v60 offset:9152
	;; [unrolled: 1-line block ×10, first 2 shown]
	v_cmp_gt_u32_e64 s0, 44, v54
	s_waitcnt lgkmcnt(0)
	s_barrier
	buffer_gl0_inv
	v_add_f64 v[66:67], v[4:5], -v[0:1]
	v_add_f64 v[68:69], v[6:7], -v[2:3]
	;; [unrolled: 1-line block ×12, first 2 shown]
	v_fma_f64 v[46:47], v[4:5], 2.0, -v[66:67]
	v_fma_f64 v[48:49], v[6:7], 2.0, -v[68:69]
	;; [unrolled: 1-line block ×12, first 2 shown]
	v_lshl_add_u32 v10, v63, 5, 0
	v_lshl_add_u32 v11, v61, 5, 0
	v_add_nc_u32_e32 v43, v60, v50
	v_add_nc_u32_e32 v12, v8, v64
	;; [unrolled: 1-line block ×5, first 2 shown]
	ds_write_b128 v43, v[66:69] offset:16
	ds_write_b128 v12, v[14:17] offset:16
	;; [unrolled: 1-line block ×4, first 2 shown]
	ds_write_b128 v43, v[46:49]
	ds_write_b128 v12, v[70:73]
	;; [unrolled: 1-line block ×5, first 2 shown]
	ds_write_b128 v44, v[34:37] offset:16
	s_and_saveexec_b32 s1, s0
	s_cbranch_execz .LBB0_15
; %bb.14:
	v_lshlrev_b32_e32 v12, 5, v58
	v_add3_u32 v12, 0, v12, v64
	ds_write_b128 v12, v[4:7]
	ds_write_b128 v12, v[0:3] offset:16
.LBB0_15:
	s_or_b32 exec_lo, exec_lo, s1
	v_lshlrev_b32_e32 v12, 4, v59
	v_lshlrev_b32_e32 v13, 4, v65
	;; [unrolled: 1-line block ×3, first 2 shown]
	s_waitcnt lgkmcnt(0)
	s_barrier
	v_sub_nc_u32_e32 v8, v8, v12
	v_lshlrev_b32_e32 v12, 4, v61
	v_sub_nc_u32_e32 v9, v9, v13
	v_sub_nc_u32_e32 v13, v10, v14
	buffer_gl0_inv
	v_add_nc_u32_e32 v187, v8, v64
	v_sub_nc_u32_e32 v12, v11, v12
	v_add_nc_u32_e32 v55, v9, v64
	v_add_nc_u32_e32 v255, v13, v64
	ds_read_b128 v[8:11], v62
	ds_read_b128 v[28:31], v60 offset:7744
	v_lshlrev_b32_e32 v70, 1, v59
	v_add_nc_u32_e32 v95, v12, v64
	ds_read_b128 v[20:23], v187
	ds_read_b128 v[12:15], v55
	ds_read_b128 v[40:43], v60 offset:9152
	ds_read_b128 v[32:35], v60 offset:10560
	ds_read_b128 v[24:27], v255
	ds_read_b128 v[16:19], v95
	ds_read_b128 v[44:47], v60 offset:11968
	ds_read_b128 v[36:39], v60 offset:13376
	v_lshlrev_b32_e32 v69, 1, v65
	v_lshlrev_b32_e32 v68, 1, v63
	;; [unrolled: 1-line block ×4, first 2 shown]
	s_and_saveexec_b32 s1, s0
	s_cbranch_execz .LBB0_17
; %bb.16:
	v_add3_u32 v0, 0, v66, v64
	ds_read_b128 v[4:7], v0
	ds_read_b128 v[0:3], v60 offset:14784
.LBB0_17:
	s_or_b32 exec_lo, exec_lo, s1
	v_and_b32_e32 v48, 1, v54
	v_lshlrev_b32_e32 v49, 4, v48
	v_and_or_b32 v51, 0x3fc, v69, v48
	global_load_dwordx4 v[71:74], v49, s[12:13]
	v_lshlrev_b32_e32 v51, 4, v51
	s_waitcnt vmcnt(0) lgkmcnt(0)
	s_barrier
	buffer_gl0_inv
	v_add3_u32 v51, 0, v51, v64
	v_mul_f64 v[49:50], v[30:31], v[73:74]
	v_mul_f64 v[75:76], v[28:29], v[73:74]
	;; [unrolled: 1-line block ×12, first 2 shown]
	v_fma_f64 v[28:29], v[28:29], v[71:72], -v[49:50]
	v_fma_f64 v[30:31], v[30:31], v[71:72], v[75:76]
	v_fma_f64 v[40:41], v[40:41], v[71:72], -v[77:78]
	v_fma_f64 v[42:43], v[42:43], v[71:72], v[79:80]
	;; [unrolled: 2-line block ×6, first 2 shown]
	v_lshlrev_b32_e32 v71, 1, v54
	v_and_or_b32 v73, 0x3fc, v68, v48
	v_and_or_b32 v74, 0x3fc, v67, v48
	v_lshlrev_b32_e32 v72, 1, v58
	v_lshlrev_b32_e32 v73, 4, v73
	;; [unrolled: 1-line block ×3, first 2 shown]
	v_add_f64 v[28:29], v[8:9], -v[28:29]
	v_add_f64 v[30:31], v[10:11], -v[30:31]
	;; [unrolled: 1-line block ×12, first 2 shown]
	v_and_or_b32 v49, 0xfc, v71, v48
	v_and_or_b32 v50, 0x1fc, v70, v48
	v_add3_u32 v73, 0, v73, v64
	v_add3_u32 v74, 0, v74, v64
	v_lshlrev_b32_e32 v49, 4, v49
	v_lshlrev_b32_e32 v50, 4, v50
	v_add3_u32 v49, 0, v49, v64
	v_fma_f64 v[8:9], v[8:9], 2.0, -v[28:29]
	v_fma_f64 v[10:11], v[10:11], 2.0, -v[30:31]
	;; [unrolled: 1-line block ×12, first 2 shown]
	v_add3_u32 v50, 0, v50, v64
	ds_write_b128 v49, v[28:31] offset:32
	ds_write_b128 v49, v[8:11]
	ds_write_b128 v50, v[20:23]
	ds_write_b128 v50, v[32:35] offset:32
	ds_write_b128 v51, v[12:15]
	ds_write_b128 v51, v[36:39] offset:32
	;; [unrolled: 2-line block ×4, first 2 shown]
	s_and_saveexec_b32 s1, s0
	s_cbranch_execz .LBB0_19
; %bb.18:
	v_and_or_b32 v8, 0x3fc, v72, v48
	v_lshlrev_b32_e32 v8, 4, v8
	v_add3_u32 v8, 0, v8, v64
	ds_write_b128 v8, v[4:7]
	ds_write_b128 v8, v[0:3] offset:32
.LBB0_19:
	s_or_b32 exec_lo, exec_lo, s1
	s_waitcnt lgkmcnt(0)
	s_barrier
	buffer_gl0_inv
	ds_read_b128 v[8:11], v62
	ds_read_b128 v[32:35], v60 offset:7744
	ds_read_b128 v[12:15], v187
	ds_read_b128 v[16:19], v55
	ds_read_b128 v[40:43], v60 offset:9152
	ds_read_b128 v[36:39], v60 offset:10560
	ds_read_b128 v[20:23], v255
	ds_read_b128 v[24:27], v95
	ds_read_b128 v[48:51], v60 offset:11968
	ds_read_b128 v[44:47], v60 offset:13376
	s_and_saveexec_b32 s1, s0
	s_cbranch_execz .LBB0_21
; %bb.20:
	v_add3_u32 v0, 0, v66, v64
	ds_read_b128 v[4:7], v0
	ds_read_b128 v[0:3], v60 offset:14784
.LBB0_21:
	s_or_b32 exec_lo, exec_lo, s1
	v_and_b32_e32 v73, 3, v54
	v_lshlrev_b32_e32 v28, 4, v73
	v_and_or_b32 v71, 0xf8, v71, v73
	v_and_or_b32 v70, 0x1f8, v70, v73
	;; [unrolled: 1-line block ×4, first 2 shown]
	global_load_dwordx4 v[28:31], v28, s[12:13] offset:32
	v_and_or_b32 v67, 0x3f8, v67, v73
	v_lshlrev_b32_e32 v71, 4, v71
	v_lshlrev_b32_e32 v70, 4, v70
	;; [unrolled: 1-line block ×5, first 2 shown]
	v_add3_u32 v71, 0, v71, v64
	v_add3_u32 v70, 0, v70, v64
	;; [unrolled: 1-line block ×3, first 2 shown]
	s_waitcnt vmcnt(0) lgkmcnt(0)
	s_barrier
	buffer_gl0_inv
	v_add3_u32 v68, 0, v68, v64
	v_add3_u32 v67, 0, v67, v64
	v_mul_f64 v[74:75], v[34:35], v[30:31]
	v_mul_f64 v[76:77], v[32:33], v[30:31]
	;; [unrolled: 1-line block ×10, first 2 shown]
	v_fma_f64 v[32:33], v[32:33], v[28:29], -v[74:75]
	v_fma_f64 v[34:35], v[34:35], v[28:29], v[76:77]
	v_fma_f64 v[40:41], v[40:41], v[28:29], -v[78:79]
	v_fma_f64 v[42:43], v[42:43], v[28:29], v[80:81]
	;; [unrolled: 2-line block ×5, first 2 shown]
	v_add_f64 v[32:33], v[8:9], -v[32:33]
	v_add_f64 v[34:35], v[10:11], -v[34:35]
	;; [unrolled: 1-line block ×10, first 2 shown]
	v_fma_f64 v[8:9], v[8:9], 2.0, -v[32:33]
	v_fma_f64 v[10:11], v[10:11], 2.0, -v[34:35]
	;; [unrolled: 1-line block ×10, first 2 shown]
	ds_write_b128 v71, v[32:35] offset:64
	ds_write_b128 v71, v[8:11]
	ds_write_b128 v70, v[12:15]
	ds_write_b128 v70, v[36:39] offset:64
	ds_write_b128 v69, v[16:19]
	ds_write_b128 v69, v[40:43] offset:64
	;; [unrolled: 2-line block ×4, first 2 shown]
	s_and_saveexec_b32 s1, s0
	s_cbranch_execz .LBB0_23
; %bb.22:
	v_mul_f64 v[8:9], v[0:1], v[30:31]
	v_mul_f64 v[10:11], v[2:3], v[30:31]
	v_fma_f64 v[2:3], v[2:3], v[28:29], v[8:9]
	v_fma_f64 v[0:1], v[0:1], v[28:29], -v[10:11]
	v_and_or_b32 v8, 0x3f8, v72, v73
	v_lshlrev_b32_e32 v8, 4, v8
	v_add3_u32 v8, 0, v8, v64
	v_add_f64 v[2:3], v[6:7], -v[2:3]
	v_add_f64 v[0:1], v[4:5], -v[0:1]
	v_fma_f64 v[6:7], v[6:7], 2.0, -v[2:3]
	v_fma_f64 v[4:5], v[4:5], 2.0, -v[0:1]
	ds_write_b128 v8, v[4:7]
	ds_write_b128 v8, v[0:3] offset:64
.LBB0_23:
	s_or_b32 exec_lo, exec_lo, s1
	v_and_b32_e32 v188, 7, v54
	s_waitcnt lgkmcnt(0)
	s_barrier
	buffer_gl0_inv
	v_add3_u32 v66, 0, v66, v64
	v_mul_u32_u24_e32 v0, 10, v188
	s_mov_b32 s24, 0xf8bb580b
	s_mov_b32 s34, 0x8eee2c13
	;; [unrolled: 1-line block ×4, first 2 shown]
	v_lshlrev_b32_e32 v0, 4, v0
	s_mov_b32 s22, 0xfd768dbf
	s_mov_b32 s25, 0xbfe14ced
	;; [unrolled: 1-line block ×4, first 2 shown]
	s_clause 0x9
	global_load_dwordx4 v[4:7], v0, s[12:13] offset:96
	global_load_dwordx4 v[8:11], v0, s[12:13] offset:240
	;; [unrolled: 1-line block ×10, first 2 shown]
	ds_read_b128 v[44:47], v187
	ds_read_b128 v[48:51], v60 offset:14080
	ds_read_b128 v[67:70], v60 offset:12672
	ds_read_b128 v[71:74], v55
	ds_read_b128 v[75:78], v255
	;; [unrolled: 1-line block ×3, first 2 shown]
	buffer_store_dword v66, off, s[40:43], 0 ; 4-byte Folded Spill
	ds_read_b128 v[0:3], v62
	ds_read_b128 v[83:86], v60 offset:8448
	ds_read_b128 v[87:90], v60 offset:9856
	;; [unrolled: 1-line block ×3, first 2 shown]
	buffer_store_dword v95, off, s[40:43], 0 offset:4 ; 4-byte Folded Spill
	ds_read_b128 v[95:98], v66
	s_mov_b32 s21, 0xbfe82f19
	s_mov_b32 s23, 0xbfd207e7
	;; [unrolled: 1-line block ×20, first 2 shown]
	s_waitcnt vmcnt(0) lgkmcnt(0)
	s_waitcnt_vscnt null, 0x0
	s_barrier
	buffer_gl0_inv
	v_mul_f64 v[99:100], v[46:47], v[6:7]
	v_mul_f64 v[6:7], v[44:45], v[6:7]
	;; [unrolled: 1-line block ×16, first 2 shown]
	v_fma_f64 v[44:45], v[44:45], v[4:5], -v[99:100]
	v_fma_f64 v[46:47], v[46:47], v[4:5], v[6:7]
	v_fma_f64 v[6:7], v[48:49], v[8:9], -v[101:102]
	v_fma_f64 v[4:5], v[50:51], v[8:9], v[10:11]
	v_mul_f64 v[48:49], v[97:98], v[38:39]
	v_mul_f64 v[38:39], v[95:96], v[38:39]
	;; [unrolled: 1-line block ×4, first 2 shown]
	v_fma_f64 v[73:74], v[73:74], v[12:13], v[14:15]
	v_fma_f64 v[8:9], v[69:70], v[16:17], v[105:106]
	v_fma_f64 v[69:70], v[71:72], v[12:13], -v[103:104]
	v_fma_f64 v[10:11], v[67:68], v[16:17], -v[18:19]
	;; [unrolled: 1-line block ×3, first 2 shown]
	v_fma_f64 v[22:23], v[77:78], v[20:21], v[22:23]
	v_fma_f64 v[12:13], v[93:94], v[28:29], v[111:112]
	v_fma_f64 v[14:15], v[91:92], v[28:29], -v[30:31]
	v_fma_f64 v[118:119], v[81:82], v[24:25], v[26:27]
	v_fma_f64 v[180:181], v[89:90], v[32:33], v[34:35]
	v_fma_f64 v[91:92], v[79:80], v[24:25], -v[109:110]
	v_fma_f64 v[178:179], v[87:88], v[32:33], -v[113:114]
	v_add_f64 v[28:29], v[0:1], v[44:45]
	v_add_f64 v[30:31], v[2:3], v[46:47]
	v_add_f64 v[18:19], v[44:45], -v[6:7]
	v_add_f64 v[16:17], v[46:47], -v[4:5]
	v_fma_f64 v[120:121], v[95:96], v[36:37], -v[48:49]
	v_fma_f64 v[122:123], v[97:98], v[36:37], v[38:39]
	v_fma_f64 v[138:139], v[83:84], v[40:41], -v[50:51]
	v_fma_f64 v[140:141], v[85:86], v[40:41], v[42:43]
	v_add_f64 v[20:21], v[44:45], v[6:7]
	v_add_f64 v[26:27], v[73:74], -v[8:9]
	v_add_f64 v[24:25], v[46:47], v[4:5]
	v_add_f64 v[34:35], v[69:70], -v[10:11]
	v_add_f64 v[32:33], v[69:70], v[10:11]
	v_add_f64 v[36:37], v[73:74], v[8:9]
	v_add_f64 v[38:39], v[22:23], -v[12:13]
	v_add_f64 v[42:43], v[66:67], -v[14:15]
	v_add_f64 v[40:41], v[66:67], v[14:15]
	v_add_f64 v[48:49], v[22:23], v[12:13]
	v_add_f64 v[50:51], v[118:119], -v[180:181]
	v_add_f64 v[78:79], v[91:92], v[178:179]
	v_add_f64 v[68:69], v[28:29], v[69:70]
	;; [unrolled: 1-line block ×3, first 2 shown]
	v_mul_f64 v[46:47], v[18:19], s[24:25]
	v_mul_f64 v[44:45], v[16:17], s[24:25]
	;; [unrolled: 1-line block ×33, first 2 shown]
	v_fma_f64 v[134:135], v[20:21], s[4:5], -v[44:45]
	v_fma_f64 v[136:137], v[24:25], s[4:5], v[46:47]
	v_fma_f64 v[142:143], v[20:21], s[4:5], v[44:45]
	v_fma_f64 v[144:145], v[24:25], s[4:5], -v[46:47]
	v_fma_f64 v[146:147], v[20:21], s[6:7], -v[71:72]
	v_fma_f64 v[148:149], v[24:25], s[6:7], v[75:76]
	v_fma_f64 v[70:71], v[20:21], s[6:7], v[71:72]
	v_fma_f64 v[75:76], v[24:25], s[6:7], -v[75:76]
	;; [unrolled: 4-line block ×5, first 2 shown]
	v_fma_f64 v[166:167], v[32:33], s[6:7], -v[88:89]
	v_fma_f64 v[168:169], v[32:33], s[6:7], v[88:89]
	v_fma_f64 v[170:171], v[32:33], s[14:15], -v[93:94]
	v_fma_f64 v[172:173], v[32:33], s[14:15], v[93:94]
	;; [unrolled: 2-line block ×5, first 2 shown]
	v_fma_f64 v[197:198], v[36:37], s[6:7], v[28:29]
	v_fma_f64 v[199:200], v[36:37], s[6:7], -v[28:29]
	v_fma_f64 v[201:202], v[36:37], s[14:15], v[30:31]
	v_fma_f64 v[203:204], v[36:37], s[14:15], -v[30:31]
	;; [unrolled: 2-line block ×5, first 2 shown]
	v_fma_f64 v[217:218], v[40:41], s[8:9], -v[103:104]
	v_fma_f64 v[219:220], v[40:41], s[8:9], v[103:104]
	v_fma_f64 v[32:33], v[40:41], s[16:17], -v[105:106]
	v_fma_f64 v[28:29], v[40:41], s[16:17], v[105:106]
	;; [unrolled: 2-line block ×5, first 2 shown]
	v_add_f64 v[221:222], v[73:74], v[22:23]
	v_fma_f64 v[223:224], v[48:49], s[8:9], v[111:112]
	v_fma_f64 v[225:226], v[48:49], s[8:9], -v[111:112]
	v_fma_f64 v[46:47], v[48:49], s[16:17], v[113:114]
	v_fma_f64 v[22:23], v[48:49], s[16:17], -v[113:114]
	;; [unrolled: 2-line block ×5, first 2 shown]
	v_mul_f64 v[48:49], v[50:51], s[22:23]
	v_mul_f64 v[93:94], v[50:51], s[28:29]
	v_add_f64 v[88:89], v[68:69], v[66:67]
	v_add_f64 v[227:228], v[0:1], v[134:135]
	;; [unrolled: 1-line block ×21, first 2 shown]
	v_fma_f64 v[76:77], v[78:79], s[14:15], -v[128:129]
	v_fma_f64 v[74:75], v[78:79], s[14:15], v[128:129]
	v_fma_f64 v[72:73], v[78:79], s[8:9], -v[130:131]
	v_fma_f64 v[68:69], v[78:79], s[8:9], v[130:131]
	;; [unrolled: 2-line block ×5, first 2 shown]
	v_add_f64 v[78:79], v[91:92], -v[178:179]
	v_add_f64 v[95:96], v[118:119], v[180:181]
	v_add_f64 v[124:125], v[88:89], v[91:92]
	;; [unrolled: 1-line block ×15, first 2 shown]
	v_lshrrev_b32_e32 v183, 3, v54
	v_mul_u32_u24_e32 v183, 0x58, v183
	v_mul_f64 v[80:81], v[78:79], s[20:21]
	v_mul_f64 v[84:85], v[78:79], s[24:25]
	;; [unrolled: 1-line block ×5, first 2 shown]
	v_add_f64 v[150:151], v[124:125], v[120:121]
	v_add_f64 v[120:121], v[120:121], -v[138:139]
	v_add_f64 v[152:153], v[118:119], v[122:123]
	v_add_f64 v[124:125], v[122:123], v[140:141]
	v_add_f64 v[142:143], v[217:218], v[221:222]
	v_add_f64 v[144:145], v[223:224], v[197:198]
	v_add_f64 v[44:45], v[44:45], v[160:161]
	v_add_f64 v[26:27], v[26:27], v[164:165]
	v_add_f64 v[42:43], v[42:43], v[166:167]
	v_add_f64 v[24:25], v[24:25], v[162:163]
	v_add_f64 v[38:39], v[38:39], v[176:177]
	v_add_f64 v[18:19], v[18:19], v[168:169]
	v_add_f64 v[22:23], v[22:23], v[156:157]
	v_or_b32_e32 v183, v183, v188
	v_fma_f64 v[116:117], v[95:96], s[14:15], v[80:81]
	v_fma_f64 v[114:115], v[95:96], s[14:15], -v[80:81]
	v_fma_f64 v[108:109], v[95:96], s[4:5], v[84:85]
	v_fma_f64 v[80:81], v[95:96], s[4:5], -v[84:85]
	v_add_f64 v[84:85], v[122:123], -v[140:141]
	v_fma_f64 v[112:113], v[95:96], s[8:9], v[82:83]
	v_fma_f64 v[78:79], v[95:96], s[8:9], -v[82:83]
	v_fma_f64 v[104:105], v[95:96], s[16:17], v[86:87]
	v_fma_f64 v[82:83], v[95:96], s[16:17], -v[86:87]
	v_fma_f64 v[100:101], v[95:96], s[6:7], v[93:94]
	v_fma_f64 v[94:95], v[95:96], s[6:7], -v[93:94]
	v_mul_f64 v[118:119], v[120:121], s[22:23]
	v_mul_f64 v[122:123], v[120:121], s[26:27]
	;; [unrolled: 1-line block ×4, first 2 shown]
	v_add_f64 v[229:230], v[150:151], v[138:139]
	v_add_f64 v[185:186], v[152:153], v[140:141]
	;; [unrolled: 1-line block ×11, first 2 shown]
	v_mul_f64 v[86:87], v[84:85], s[22:23]
	v_mul_f64 v[126:127], v[84:85], s[28:29]
	;; [unrolled: 1-line block ×5, first 2 shown]
	v_add_f64 v[44:45], v[108:109], v[44:45]
	v_add_f64 v[26:27], v[66:67], v[26:27]
	v_fma_f64 v[136:137], v[124:125], s[16:17], v[118:119]
	v_fma_f64 v[134:135], v[124:125], s[16:17], -v[118:119]
	v_fma_f64 v[132:133], v[124:125], s[4:5], v[122:123]
	v_fma_f64 v[118:119], v[124:125], s[4:5], -v[122:123]
	v_fma_f64 v[122:123], v[124:125], s[6:7], -v[154:155]
	v_add_f64 v[178:179], v[229:230], v[178:179]
	v_add_f64 v[180:181], v[185:186], v[180:181]
	;; [unrolled: 1-line block ×10, first 2 shown]
	v_fma_f64 v[110:111], v[128:129], s[16:17], -v[86:87]
	v_fma_f64 v[106:107], v[128:129], s[16:17], v[86:87]
	v_fma_f64 v[92:93], v[128:129], s[6:7], -v[126:127]
	v_fma_f64 v[86:87], v[128:129], s[6:7], v[126:127]
	v_mul_f64 v[126:127], v[120:121], s[20:21]
	v_fma_f64 v[102:103], v[128:129], s[4:5], -v[88:89]
	v_fma_f64 v[96:97], v[128:129], s[4:5], v[88:89]
	v_fma_f64 v[98:99], v[128:129], s[14:15], -v[90:91]
	v_fma_f64 v[90:91], v[128:129], s[14:15], v[90:91]
	;; [unrolled: 2-line block ×3, first 2 shown]
	v_fma_f64 v[128:129], v[124:125], s[6:7], v[154:155]
	v_add_f64 v[154:155], v[172:173], v[231:232]
	v_add_f64 v[172:173], v[213:214], v[251:252]
	;; [unrolled: 1-line block ×12, first 2 shown]
	v_fma_f64 v[130:131], v[124:125], s[14:15], v[126:127]
	v_fma_f64 v[120:121], v[124:125], s[14:15], -v[126:127]
	v_fma_f64 v[126:127], v[124:125], s[8:9], v[158:159]
	v_fma_f64 v[124:125], v[124:125], s[8:9], -v[158:159]
	v_add_f64 v[158:159], v[174:175], v[235:236]
	v_add_f64 v[174:175], v[195:196], v[253:254]
	;; [unrolled: 1-line block ×35, first 2 shown]
	v_lshlrev_b32_e32 v4, 4, v183
	v_mul_u32_u24_e32 v5, 10, v54
	v_add3_u32 v4, 0, v4, v64
	v_lshlrev_b32_e32 v48, 4, v5
	ds_write_b128 v4, v[0:3] offset:128
	ds_write_b128 v4, v[12:15] offset:256
	;; [unrolled: 1-line block ×10, first 2 shown]
	ds_write_b128 v4, v[44:47]
	s_waitcnt lgkmcnt(0)
	s_barrier
	buffer_gl0_inv
	s_clause 0x9
	global_load_dwordx4 v[0:3], v48, s[12:13] offset:1376
	global_load_dwordx4 v[4:7], v48, s[12:13] offset:1520
	;; [unrolled: 1-line block ×10, first 2 shown]
	ds_read_b128 v[40:43], v187
	ds_read_b128 v[44:47], v60 offset:14080
	ds_read_b128 v[48:51], v55
	ds_read_b128 v[66:69], v60 offset:12672
	ds_read_b128 v[70:73], v255
	buffer_load_dword v55, off, s[40:43], 0 offset:4 ; 4-byte Folded Reload
	s_waitcnt vmcnt(0)
	ds_read_b128 v[74:77], v55
	ds_read_b128 v[78:81], v60 offset:11264
	ds_read_b128 v[82:85], v60 offset:9856
	buffer_load_dword v55, off, s[40:43], 0 ; 4-byte Folded Reload
	s_waitcnt lgkmcnt(7)
	v_mul_f64 v[94:95], v[42:43], v[2:3]
	v_mul_f64 v[2:3], v[40:41], v[2:3]
	s_waitcnt lgkmcnt(6)
	v_mul_f64 v[96:97], v[44:45], v[6:7]
	v_mul_f64 v[6:7], v[46:47], v[6:7]
	s_waitcnt lgkmcnt(5)
	v_mul_f64 v[98:99], v[48:49], v[10:11]
	s_waitcnt lgkmcnt(4)
	v_mul_f64 v[100:101], v[66:67], v[14:15]
	v_mul_f64 v[10:11], v[50:51], v[10:11]
	;; [unrolled: 1-line block ×3, first 2 shown]
	s_waitcnt lgkmcnt(3)
	v_mul_f64 v[102:103], v[72:73], v[18:19]
	v_mul_f64 v[18:19], v[70:71], v[18:19]
	s_waitcnt vmcnt(0)
	ds_read_b128 v[86:89], v55
	ds_read_b128 v[90:93], v60 offset:8448
	s_waitcnt lgkmcnt(4)
	v_mul_f64 v[104:105], v[76:77], v[22:23]
	v_mul_f64 v[22:23], v[74:75], v[22:23]
	s_waitcnt lgkmcnt(3)
	v_mul_f64 v[106:107], v[78:79], v[26:27]
	v_mul_f64 v[26:27], v[80:81], v[26:27]
	;; [unrolled: 3-line block ×3, first 2 shown]
	v_fma_f64 v[40:41], v[40:41], v[0:1], -v[94:95]
	v_fma_f64 v[42:43], v[42:43], v[0:1], v[2:3]
	v_fma_f64 v[0:1], v[46:47], v[4:5], v[96:97]
	v_fma_f64 v[2:3], v[44:45], v[4:5], -v[6:7]
	ds_read_b128 v[134:137], v62
	v_fma_f64 v[50:51], v[50:51], v[8:9], v[98:99]
	v_fma_f64 v[4:5], v[68:69], v[12:13], v[100:101]
	v_fma_f64 v[48:49], v[48:49], v[8:9], -v[10:11]
	v_fma_f64 v[6:7], v[66:67], v[12:13], -v[14:15]
	;; [unrolled: 1-line block ×3, first 2 shown]
	v_fma_f64 v[70:71], v[72:73], v[16:17], v[18:19]
	s_waitcnt lgkmcnt(0)
	v_mul_f64 v[44:45], v[88:89], v[34:35]
	v_mul_f64 v[34:35], v[86:87], v[34:35]
	;; [unrolled: 1-line block ×4, first 2 shown]
	s_barrier
	buffer_gl0_inv
	v_fma_f64 v[8:9], v[80:81], v[24:25], v[106:107]
	v_fma_f64 v[10:11], v[78:79], v[24:25], -v[26:27]
	v_fma_f64 v[26:27], v[74:75], v[20:21], -v[104:105]
	v_fma_f64 v[24:25], v[76:77], v[20:21], v[22:23]
	v_fma_f64 v[12:13], v[84:85], v[28:29], v[30:31]
	v_fma_f64 v[14:15], v[82:83], v[28:29], -v[108:109]
	v_add_f64 v[28:29], v[42:43], -v[0:1]
	v_add_f64 v[30:31], v[40:41], -v[2:3]
	v_fma_f64 v[22:23], v[86:87], v[32:33], -v[44:45]
	v_fma_f64 v[20:21], v[88:89], v[32:33], v[34:35]
	v_add_f64 v[32:33], v[134:135], v[40:41]
	v_fma_f64 v[16:17], v[90:91], v[36:37], -v[46:47]
	v_fma_f64 v[18:19], v[92:93], v[36:37], v[38:39]
	v_add_f64 v[34:35], v[136:137], v[42:43]
	v_add_f64 v[36:37], v[50:51], -v[4:5]
	v_add_f64 v[38:39], v[40:41], v[2:3]
	v_add_f64 v[40:41], v[42:43], v[0:1]
	;; [unrolled: 1-line block ×3, first 2 shown]
	v_add_f64 v[46:47], v[48:49], -v[6:7]
	v_add_f64 v[66:67], v[70:71], -v[8:9]
	;; [unrolled: 1-line block ×4, first 2 shown]
	v_mul_f64 v[76:77], v[28:29], s[24:25]
	v_mul_f64 v[80:81], v[30:31], s[24:25]
	;; [unrolled: 1-line block ×6, first 2 shown]
	v_add_f64 v[44:45], v[50:51], v[4:5]
	v_add_f64 v[78:79], v[68:69], v[10:11]
	;; [unrolled: 1-line block ×5, first 2 shown]
	v_mul_f64 v[32:33], v[28:29], s[20:21]
	v_mul_f64 v[48:49], v[30:31], s[20:21]
	;; [unrolled: 1-line block ×4, first 2 shown]
	v_add_f64 v[104:105], v[34:35], v[50:51]
	v_mul_f64 v[34:35], v[36:37], s[34:35]
	v_mul_f64 v[50:51], v[36:37], s[20:21]
	v_mul_f64 v[94:95], v[36:37], s[36:37]
	v_mul_f64 v[102:103], v[36:37], s[30:31]
	v_mul_f64 v[36:37], v[36:37], s[26:27]
	v_mul_f64 v[106:107], v[46:47], s[34:35]
	v_mul_f64 v[108:109], v[46:47], s[20:21]
	v_mul_f64 v[110:111], v[46:47], s[36:37]
	v_mul_f64 v[112:113], v[46:47], s[30:31]
	v_mul_f64 v[116:117], v[46:47], s[26:27]
	v_mul_f64 v[120:121], v[66:67], s[18:19]
	v_mul_f64 v[124:125], v[66:67], s[36:37]
	v_mul_f64 v[128:129], v[66:67], s[28:29]
	v_mul_f64 v[132:133], v[66:67], s[24:25]
	v_mul_f64 v[138:139], v[66:67], s[20:21]
	v_mul_f64 v[140:141], v[72:73], s[18:19]
	v_mul_f64 v[144:145], v[72:73], s[36:37]
	v_mul_f64 v[146:147], v[72:73], s[28:29]
	v_mul_f64 v[148:149], v[72:73], s[24:25]
	v_mul_f64 v[150:151], v[72:73], s[20:21]
	v_mul_f64 v[152:153], v[74:75], s[20:21]
	v_mul_f64 v[154:155], v[74:75], s[30:31]
	v_mul_f64 v[156:157], v[74:75], s[24:25]
	v_mul_f64 v[158:159], v[74:75], s[22:23]
	v_mul_f64 v[160:161], v[74:75], s[28:29]
	v_fma_f64 v[162:163], v[38:39], s[4:5], -v[76:77]
	v_fma_f64 v[164:165], v[40:41], s[4:5], v[80:81]
	v_fma_f64 v[166:167], v[38:39], s[4:5], v[76:77]
	v_fma_f64 v[168:169], v[40:41], s[4:5], -v[80:81]
	v_fma_f64 v[170:171], v[38:39], s[6:7], -v[82:83]
	v_fma_f64 v[172:173], v[40:41], s[6:7], v[84:85]
	v_fma_f64 v[174:175], v[38:39], s[6:7], v[82:83]
	v_fma_f64 v[176:177], v[40:41], s[6:7], -v[84:85]
	;; [unrolled: 4-line block ×5, first 2 shown]
	v_fma_f64 v[100:101], v[42:43], s[6:7], -v[34:35]
	v_fma_f64 v[98:99], v[42:43], s[6:7], v[34:35]
	v_fma_f64 v[92:93], v[42:43], s[14:15], -v[50:51]
	v_fma_f64 v[80:81], v[42:43], s[14:15], v[50:51]
	;; [unrolled: 2-line block ×5, first 2 shown]
	v_fma_f64 v[130:131], v[44:45], s[6:7], v[106:107]
	v_fma_f64 v[126:127], v[44:45], s[6:7], -v[106:107]
	v_fma_f64 v[122:123], v[44:45], s[14:15], v[108:109]
	v_fma_f64 v[34:35], v[44:45], s[14:15], -v[108:109]
	;; [unrolled: 2-line block ×5, first 2 shown]
	v_fma_f64 v[94:95], v[78:79], s[8:9], -v[120:121]
	v_fma_f64 v[86:87], v[78:79], s[8:9], v[120:121]
	v_fma_f64 v[76:77], v[78:79], s[16:17], -v[124:125]
	v_fma_f64 v[50:51], v[78:79], s[16:17], v[124:125]
	;; [unrolled: 2-line block ×5, first 2 shown]
	v_add_f64 v[203:204], v[96:97], v[68:69]
	v_add_f64 v[205:206], v[104:105], v[70:71]
	v_fma_f64 v[132:133], v[90:91], s[8:9], v[140:141]
	v_fma_f64 v[128:129], v[90:91], s[8:9], -v[140:141]
	v_fma_f64 v[124:125], v[90:91], s[16:17], v[144:145]
	v_fma_f64 v[38:39], v[90:91], s[16:17], -v[144:145]
	;; [unrolled: 2-line block ×5, first 2 shown]
	v_fma_f64 v[96:97], v[142:143], s[14:15], -v[152:153]
	v_fma_f64 v[90:91], v[142:143], s[14:15], v[152:153]
	v_fma_f64 v[78:79], v[142:143], s[8:9], -v[154:155]
	v_fma_f64 v[68:69], v[142:143], s[8:9], v[154:155]
	;; [unrolled: 2-line block ×3, first 2 shown]
	v_add_f64 v[144:145], v[134:135], v[162:163]
	v_add_f64 v[146:147], v[136:137], v[164:165]
	;; [unrolled: 1-line block ×20, first 2 shown]
	v_fma_f64 v[140:141], v[142:143], s[16:17], -v[158:159]
	v_fma_f64 v[136:137], v[142:143], s[16:17], v[158:159]
	v_fma_f64 v[138:139], v[142:143], s[6:7], -v[160:161]
	v_fma_f64 v[134:135], v[142:143], s[6:7], v[160:161]
	v_add_f64 v[142:143], v[26:27], -v[14:15]
	v_add_f64 v[193:194], v[24:25], v[12:13]
	v_add_f64 v[26:27], v[203:204], v[26:27]
	v_add_f64 v[24:25], v[205:206], v[24:25]
	v_add_f64 v[215:216], v[22:23], v[16:17]
	v_add_f64 v[92:93], v[92:93], v[152:153]
	v_add_f64 v[82:83], v[82:83], v[164:165]
	v_add_f64 v[80:81], v[80:81], v[156:157]
	v_add_f64 v[72:73], v[72:73], v[168:169]
	v_add_f64 v[84:85], v[84:85], v[170:171]
	v_add_f64 v[74:75], v[74:75], v[172:173]
	v_add_f64 v[114:115], v[114:115], v[174:175]
	v_add_f64 v[46:47], v[46:47], v[176:177]
	v_add_f64 v[102:103], v[102:103], v[178:179]
	v_add_f64 v[48:49], v[48:49], v[180:181]
	v_add_f64 v[110:111], v[110:111], v[183:184]
	v_add_f64 v[36:37], v[36:37], v[185:186]
	v_add_f64 v[106:107], v[106:107], v[187:188]
	v_add_f64 v[34:35], v[34:35], v[162:163]
	v_mul_f64 v[158:159], v[142:143], s[20:21]
	v_mul_f64 v[160:161], v[142:143], s[30:31]
	;; [unrolled: 1-line block ×5, first 2 shown]
	v_add_f64 v[26:27], v[26:27], v[22:23]
	v_add_f64 v[22:23], v[22:23], -v[16:17]
	v_add_f64 v[24:25], v[24:25], v[20:21]
	v_add_f64 v[66:67], v[66:67], v[82:83]
	;; [unrolled: 1-line block ×14, first 2 shown]
	v_fma_f64 v[195:196], v[193:194], s[14:15], v[158:159]
	v_fma_f64 v[158:159], v[193:194], s[14:15], -v[158:159]
	v_fma_f64 v[197:198], v[193:194], s[8:9], v[160:161]
	v_fma_f64 v[160:161], v[193:194], s[8:9], -v[160:161]
	;; [unrolled: 2-line block ×5, first 2 shown]
	v_add_f64 v[193:194], v[20:21], -v[18:19]
	v_add_f64 v[20:21], v[20:21], v[18:19]
	v_mul_f64 v[205:206], v[22:23], s[22:23]
	v_mul_f64 v[227:228], v[22:23], s[20:21]
	;; [unrolled: 1-line block ×3, first 2 shown]
	v_add_f64 v[16:17], v[26:27], v[16:17]
	v_add_f64 v[18:19], v[24:25], v[18:19]
	;; [unrolled: 1-line block ×11, first 2 shown]
	v_mul_f64 v[203:204], v[193:194], s[22:23]
	v_mul_f64 v[209:210], v[193:194], s[26:27]
	;; [unrolled: 1-line block ×5, first 2 shown]
	v_fma_f64 v[231:232], v[20:21], s[16:17], v[205:206]
	v_fma_f64 v[205:206], v[20:21], s[16:17], -v[205:206]
	v_fma_f64 v[235:236], v[20:21], s[14:15], v[227:228]
	v_fma_f64 v[227:228], v[20:21], s[14:15], -v[227:228]
	;; [unrolled: 2-line block ×3, first 2 shown]
	v_add_f64 v[14:15], v[16:17], v[14:15]
	v_add_f64 v[12:13], v[18:19], v[12:13]
	;; [unrolled: 1-line block ×3, first 2 shown]
	v_fma_f64 v[217:218], v[215:216], s[16:17], -v[203:204]
	v_fma_f64 v[203:204], v[215:216], s[16:17], v[203:204]
	v_fma_f64 v[219:220], v[215:216], s[4:5], -v[209:210]
	v_fma_f64 v[209:210], v[215:216], s[4:5], v[209:210]
	;; [unrolled: 2-line block ×5, first 2 shown]
	v_mul_f64 v[215:216], v[22:23], s[26:27]
	v_mul_f64 v[22:23], v[22:23], s[18:19]
	v_add_f64 v[10:11], v[14:15], v[10:11]
	v_add_f64 v[8:9], v[12:13], v[8:9]
	;; [unrolled: 1-line block ×3, first 2 shown]
	s_mov_b32 s6, exec_lo
	v_fma_f64 v[233:234], v[20:21], s[4:5], v[215:216]
	v_fma_f64 v[215:216], v[20:21], s[4:5], -v[215:216]
	v_fma_f64 v[239:240], v[20:21], s[8:9], v[22:23]
	v_fma_f64 v[241:242], v[20:21], s[8:9], -v[22:23]
	v_add_f64 v[20:21], v[100:101], v[144:145]
	v_add_f64 v[22:23], v[130:131], v[146:147]
	;; [unrolled: 1-line block ×3, first 2 shown]
	s_add_u32 s4, s12, 0x3c60
	s_addc_u32 s5, s13, 0
	v_add_f64 v[16:17], v[94:95], v[20:21]
	v_add_f64 v[18:19], v[132:133], v[22:23]
	;; [unrolled: 1-line block ×43, first 2 shown]
	ds_write_b128 v60, v[4:7] offset:1408
	ds_write_b128 v60, v[12:15] offset:2816
	;; [unrolled: 1-line block ×10, first 2 shown]
	ds_write_b128 v60, v[44:47]
	s_waitcnt lgkmcnt(0)
	s_barrier
	buffer_gl0_inv
	ds_read_b128 v[4:7], v62
	v_lshlrev_b32_e32 v0, 4, v54
                                        ; implicit-def: $vgpr2_vgpr3
                                        ; implicit-def: $vgpr8_vgpr9
	v_sub_nc_u32_e32 v10, v182, v0
	v_cmpx_ne_u32_e32 0, v54
	s_xor_b32 s6, exec_lo, s6
	s_cbranch_execz .LBB0_25
; %bb.24:
	v_mov_b32_e32 v55, 0
	v_lshlrev_b64 v[0:1], 4, v[54:55]
	v_add_co_u32 v0, s1, s4, v0
	v_add_co_ci_u32_e64 v1, s1, s5, v1, s1
	global_load_dwordx4 v[11:14], v[0:1], off
	ds_read_b128 v[0:3], v10 offset:15488
	s_waitcnt lgkmcnt(0)
	v_add_f64 v[8:9], v[4:5], -v[0:1]
	v_add_f64 v[15:16], v[6:7], v[2:3]
	v_add_f64 v[2:3], v[6:7], -v[2:3]
	v_add_f64 v[0:1], v[4:5], v[0:1]
	v_mul_f64 v[6:7], v[8:9], 0.5
	v_mul_f64 v[4:5], v[15:16], 0.5
	v_mul_f64 v[2:3], v[2:3], 0.5
	s_waitcnt vmcnt(0)
	v_mul_f64 v[8:9], v[6:7], v[13:14]
	v_fma_f64 v[15:16], v[4:5], v[13:14], v[2:3]
	v_fma_f64 v[2:3], v[4:5], v[13:14], -v[2:3]
	v_fma_f64 v[17:18], v[0:1], 0.5, v[8:9]
	v_fma_f64 v[0:1], v[0:1], 0.5, -v[8:9]
	v_fma_f64 v[8:9], -v[11:12], v[6:7], v[15:16]
	v_fma_f64 v[2:3], -v[11:12], v[6:7], v[2:3]
	v_fma_f64 v[13:14], v[4:5], v[11:12], v[17:18]
	v_fma_f64 v[0:1], -v[4:5], v[11:12], v[0:1]
                                        ; implicit-def: $vgpr4_vgpr5
	ds_write_b64 v62, v[13:14]
.LBB0_25:
	s_andn2_saveexec_b32 s1, s6
	s_cbranch_execz .LBB0_27
; %bb.26:
	ds_read_b64 v[11:12], v182 offset:7752
	s_waitcnt lgkmcnt(1)
	v_add_f64 v[13:14], v[4:5], v[6:7]
	v_add_f64 v[0:1], v[4:5], -v[6:7]
	v_mov_b32_e32 v8, 0
	v_mov_b32_e32 v9, 0
	;; [unrolled: 1-line block ×4, first 2 shown]
	s_waitcnt lgkmcnt(0)
	v_xor_b32_e32 v12, 0x80000000, v12
	ds_write_b64 v62, v[13:14]
	ds_write_b64 v182, v[11:12] offset:7752
.LBB0_27:
	s_or_b32 exec_lo, exec_lo, s1
	v_mov_b32_e32 v60, 0
	ds_write_b64 v62, v[8:9] offset:8
	v_lshl_add_u32 v27, v59, 4, v182
	ds_write_b128 v10, v[0:3] offset:15488
	v_lshl_add_u32 v28, v65, 4, v182
	s_waitcnt lgkmcnt(2)
	v_lshlrev_b64 v[4:5], 4, v[59:60]
	v_mov_b32_e32 v66, v60
	v_mov_b32_e32 v64, v60
	;; [unrolled: 1-line block ×3, first 2 shown]
	v_lshlrev_b64 v[11:12], 4, v[65:66]
	v_add_co_u32 v4, s1, s4, v4
	v_add_co_ci_u32_e64 v5, s1, s5, v5, s1
	v_lshlrev_b64 v[8:9], 4, v[63:64]
	v_add_co_u32 v11, s1, s4, v11
	global_load_dwordx4 v[4:7], v[4:5], off
	v_add_co_ci_u32_e64 v12, s1, s5, v12, s1
	v_add_co_u32 v8, s1, s4, v8
	v_add_co_ci_u32_e64 v9, s1, s5, v9, s1
	global_load_dwordx4 v[11:14], v[11:12], off
	ds_read_b128 v[0:3], v27
	ds_read_b128 v[15:18], v10 offset:14080
	global_load_dwordx4 v[19:22], v[8:9], off
	s_waitcnt lgkmcnt(0)
	v_add_f64 v[8:9], v[0:1], -v[15:16]
	v_add_f64 v[23:24], v[2:3], v[17:18]
	v_add_f64 v[2:3], v[2:3], -v[17:18]
	v_add_f64 v[0:1], v[0:1], v[15:16]
	v_mul_f64 v[8:9], v[8:9], 0.5
	v_mul_f64 v[17:18], v[23:24], 0.5
	;; [unrolled: 1-line block ×3, first 2 shown]
	s_waitcnt vmcnt(2)
	v_mul_f64 v[15:16], v[8:9], v[6:7]
	v_fma_f64 v[23:24], v[17:18], v[6:7], v[2:3]
	v_fma_f64 v[6:7], v[17:18], v[6:7], -v[2:3]
	v_fma_f64 v[25:26], v[0:1], 0.5, v[15:16]
	v_fma_f64 v[15:16], v[0:1], 0.5, -v[15:16]
	v_fma_f64 v[2:3], -v[4:5], v[8:9], v[23:24]
	v_fma_f64 v[6:7], -v[4:5], v[8:9], v[6:7]
	v_lshlrev_b64 v[8:9], 4, v[61:62]
	v_add_co_u32 v8, s1, s4, v8
	v_add_co_ci_u32_e64 v9, s1, s5, v9, s1
	v_fma_f64 v[0:1], v[17:18], v[4:5], v[25:26]
	v_fma_f64 v[4:5], -v[17:18], v[4:5], v[15:16]
	ds_write_b128 v27, v[0:3]
	ds_write_b128 v10, v[4:7] offset:14080
	ds_read_b128 v[0:3], v28
	ds_read_b128 v[4:7], v10 offset:12672
	global_load_dwordx4 v[15:18], v[8:9], off
	s_waitcnt lgkmcnt(0)
	v_add_f64 v[8:9], v[0:1], -v[4:5]
	v_add_f64 v[23:24], v[2:3], v[6:7]
	v_add_f64 v[2:3], v[2:3], -v[6:7]
	v_add_f64 v[0:1], v[0:1], v[4:5]
	v_mul_f64 v[6:7], v[8:9], 0.5
	v_mul_f64 v[8:9], v[23:24], 0.5
	;; [unrolled: 1-line block ×3, first 2 shown]
	s_waitcnt vmcnt(2)
	v_mul_f64 v[4:5], v[6:7], v[13:14]
	v_fma_f64 v[23:24], v[8:9], v[13:14], v[2:3]
	v_fma_f64 v[13:14], v[8:9], v[13:14], -v[2:3]
	v_fma_f64 v[25:26], v[0:1], 0.5, v[4:5]
	v_fma_f64 v[4:5], v[0:1], 0.5, -v[4:5]
	v_fma_f64 v[2:3], -v[11:12], v[6:7], v[23:24]
	v_fma_f64 v[6:7], -v[11:12], v[6:7], v[13:14]
	v_lshl_add_u32 v23, v63, 4, v182
	v_fma_f64 v[0:1], v[8:9], v[11:12], v[25:26]
	v_fma_f64 v[4:5], -v[8:9], v[11:12], v[4:5]
	ds_write_b128 v28, v[0:3]
	ds_write_b128 v10, v[4:7] offset:12672
	ds_read_b128 v[0:3], v23
	ds_read_b128 v[4:7], v10 offset:11264
	s_waitcnt lgkmcnt(0)
	v_add_f64 v[8:9], v[0:1], -v[4:5]
	v_add_f64 v[11:12], v[2:3], v[6:7]
	v_add_f64 v[2:3], v[2:3], -v[6:7]
	v_add_f64 v[0:1], v[0:1], v[4:5]
	v_mul_f64 v[6:7], v[8:9], 0.5
	v_mul_f64 v[8:9], v[11:12], 0.5
	;; [unrolled: 1-line block ×3, first 2 shown]
	s_waitcnt vmcnt(1)
	v_mul_f64 v[4:5], v[6:7], v[21:22]
	v_fma_f64 v[11:12], v[8:9], v[21:22], v[2:3]
	v_fma_f64 v[13:14], v[8:9], v[21:22], -v[2:3]
	v_fma_f64 v[21:22], v[0:1], 0.5, v[4:5]
	v_fma_f64 v[4:5], v[0:1], 0.5, -v[4:5]
	v_fma_f64 v[2:3], -v[19:20], v[6:7], v[11:12]
	v_fma_f64 v[6:7], -v[19:20], v[6:7], v[13:14]
	v_fma_f64 v[0:1], v[8:9], v[19:20], v[21:22]
	v_fma_f64 v[4:5], -v[8:9], v[19:20], v[4:5]
	v_lshl_add_u32 v19, v61, 4, v182
	ds_write_b128 v23, v[0:3]
	ds_write_b128 v10, v[4:7] offset:11264
	ds_read_b128 v[0:3], v19
	ds_read_b128 v[4:7], v10 offset:9856
	s_waitcnt lgkmcnt(0)
	v_add_f64 v[8:9], v[0:1], -v[4:5]
	v_add_f64 v[11:12], v[2:3], v[6:7]
	v_add_f64 v[2:3], v[2:3], -v[6:7]
	v_add_f64 v[0:1], v[0:1], v[4:5]
	v_mul_f64 v[6:7], v[8:9], 0.5
	v_mul_f64 v[8:9], v[11:12], 0.5
	;; [unrolled: 1-line block ×3, first 2 shown]
	s_waitcnt vmcnt(0)
	v_mul_f64 v[4:5], v[6:7], v[17:18]
	v_fma_f64 v[11:12], v[8:9], v[17:18], v[2:3]
	v_fma_f64 v[13:14], v[8:9], v[17:18], -v[2:3]
	v_fma_f64 v[17:18], v[0:1], 0.5, v[4:5]
	v_fma_f64 v[4:5], v[0:1], 0.5, -v[4:5]
	v_fma_f64 v[2:3], -v[15:16], v[6:7], v[11:12]
	v_fma_f64 v[6:7], -v[15:16], v[6:7], v[13:14]
	v_fma_f64 v[0:1], v[8:9], v[15:16], v[17:18]
	v_fma_f64 v[4:5], -v[8:9], v[15:16], v[4:5]
	ds_write_b128 v19, v[0:3]
	ds_write_b128 v10, v[4:7] offset:9856
	s_and_saveexec_b32 s1, s0
	s_cbranch_execz .LBB0_29
; %bb.28:
	v_mov_b32_e32 v59, v60
	v_lshl_add_u32 v17, v58, 4, v182
	v_lshlrev_b64 v[0:1], 4, v[58:59]
	v_add_co_u32 v0, s0, s4, v0
	v_add_co_ci_u32_e64 v1, s0, s5, v1, s0
	global_load_dwordx4 v[0:3], v[0:1], off
	ds_read_b128 v[4:7], v17
	ds_read_b128 v[11:14], v10 offset:8448
	s_waitcnt lgkmcnt(0)
	v_add_f64 v[8:9], v[4:5], -v[11:12]
	v_add_f64 v[15:16], v[6:7], v[13:14]
	v_add_f64 v[6:7], v[6:7], -v[13:14]
	v_add_f64 v[4:5], v[4:5], v[11:12]
	v_mul_f64 v[8:9], v[8:9], 0.5
	v_mul_f64 v[13:14], v[15:16], 0.5
	;; [unrolled: 1-line block ×3, first 2 shown]
	s_waitcnt vmcnt(0)
	v_mul_f64 v[11:12], v[8:9], v[2:3]
	v_fma_f64 v[15:16], v[13:14], v[2:3], v[6:7]
	v_fma_f64 v[2:3], v[13:14], v[2:3], -v[6:7]
	v_fma_f64 v[6:7], v[4:5], 0.5, v[11:12]
	v_fma_f64 v[11:12], v[4:5], 0.5, -v[11:12]
	v_fma_f64 v[4:5], -v[0:1], v[8:9], v[15:16]
	v_fma_f64 v[8:9], -v[0:1], v[8:9], v[2:3]
	v_fma_f64 v[2:3], v[13:14], v[0:1], v[6:7]
	v_fma_f64 v[6:7], -v[13:14], v[0:1], v[11:12]
	ds_write_b128 v17, v[2:5]
	ds_write_b128 v10, v[6:9] offset:8448
.LBB0_29:
	s_or_b32 exec_lo, exec_lo, s1
	s_waitcnt lgkmcnt(0)
	s_barrier
	buffer_gl0_inv
	s_and_saveexec_b32 s0, vcc_lo
	s_cbranch_execz .LBB0_32
; %bb.30:
	v_mul_lo_u32 v3, s3, v56
	v_mul_lo_u32 v4, s2, v57
	v_mad_u64_u32 v[1:2], null, s2, v56, 0
	v_mov_b32_e32 v55, 0
	v_lshl_add_u32 v0, v54, 4, v182
	v_lshlrev_b64 v[15:16], 4, v[52:53]
	v_add_nc_u32_e32 v17, 0x58, v54
	v_add_nc_u32_e32 v19, 0xb0, v54
	v_mov_b32_e32 v18, v55
	v_add3_u32 v2, v2, v4, v3
	ds_read_b128 v[3:6], v0
	ds_read_b128 v[7:10], v0 offset:1408
	v_lshlrev_b64 v[21:22], 4, v[54:55]
	v_mov_b32_e32 v20, v55
	ds_read_b128 v[11:14], v0 offset:2816
	v_lshlrev_b64 v[1:2], 4, v[1:2]
	v_add_nc_u32_e32 v25, 0x108, v54
	v_mov_b32_e32 v26, v55
	v_lshlrev_b64 v[19:20], 4, v[19:20]
	v_add_co_u32 v1, vcc_lo, s10, v1
	v_add_co_ci_u32_e32 v2, vcc_lo, s11, v2, vcc_lo
	v_add_co_u32 v1, vcc_lo, v1, v15
	v_add_co_ci_u32_e32 v2, vcc_lo, v2, v16, vcc_lo
	v_lshlrev_b64 v[15:16], 4, v[17:18]
	v_add_co_u32 v21, vcc_lo, v1, v21
	v_add_co_ci_u32_e32 v22, vcc_lo, v2, v22, vcc_lo
	v_add_co_u32 v23, vcc_lo, v1, v15
	v_add_co_ci_u32_e32 v24, vcc_lo, v2, v16, vcc_lo
	ds_read_b128 v[15:18], v0 offset:4224
	s_waitcnt lgkmcnt(3)
	global_store_dwordx4 v[21:22], v[3:6], off
	s_waitcnt lgkmcnt(2)
	global_store_dwordx4 v[23:24], v[7:10], off
	v_lshlrev_b64 v[3:4], 4, v[25:26]
	v_add_co_u32 v5, vcc_lo, v1, v19
	v_add_co_ci_u32_e32 v6, vcc_lo, v2, v20, vcc_lo
	v_add_nc_u32_e32 v7, 0x160, v54
	v_add_co_u32 v3, vcc_lo, v1, v3
	v_add_co_ci_u32_e32 v4, vcc_lo, v2, v4, vcc_lo
	v_mov_b32_e32 v8, v55
	s_waitcnt lgkmcnt(1)
	global_store_dwordx4 v[5:6], v[11:14], off
	v_add_nc_u32_e32 v11, 0x1b8, v54
	v_mov_b32_e32 v12, v55
	v_add_nc_u32_e32 v19, 0x210, v54
	v_mov_b32_e32 v20, v55
	v_add_nc_u32_e32 v21, 0x268, v54
	s_waitcnt lgkmcnt(0)
	global_store_dwordx4 v[3:4], v[15:18], off
	v_lshlrev_b64 v[15:16], 4, v[7:8]
	ds_read_b128 v[3:6], v0 offset:5632
	ds_read_b128 v[7:10], v0 offset:7040
	v_lshlrev_b64 v[17:18], 4, v[11:12]
	ds_read_b128 v[11:14], v0 offset:8448
	v_lshlrev_b64 v[19:20], 4, v[19:20]
	v_mov_b32_e32 v22, v55
	v_add_co_u32 v15, vcc_lo, v1, v15
	v_add_co_ci_u32_e32 v16, vcc_lo, v2, v16, vcc_lo
	v_add_co_u32 v17, vcc_lo, v1, v17
	v_add_co_ci_u32_e32 v18, vcc_lo, v2, v18, vcc_lo
	v_add_co_u32 v19, vcc_lo, v1, v19
	s_waitcnt lgkmcnt(2)
	global_store_dwordx4 v[15:16], v[3:6], off
	s_waitcnt lgkmcnt(1)
	global_store_dwordx4 v[17:18], v[7:10], off
	v_lshlrev_b64 v[7:8], 4, v[21:22]
	v_add_co_ci_u32_e32 v20, vcc_lo, v2, v20, vcc_lo
	v_add_nc_u32_e32 v9, 0x2c0, v54
	v_mov_b32_e32 v10, v55
	v_add_nc_u32_e32 v15, 0x318, v54
	s_waitcnt lgkmcnt(0)
	global_store_dwordx4 v[19:20], v[11:14], off
	v_mov_b32_e32 v16, v55
	v_add_co_u32 v19, vcc_lo, v1, v7
	ds_read_b128 v[3:6], v0 offset:9856
	v_add_co_ci_u32_e32 v20, vcc_lo, v2, v8, vcc_lo
	v_lshlrev_b64 v[21:22], 4, v[9:10]
	ds_read_b128 v[7:10], v0 offset:11264
	ds_read_b128 v[11:14], v0 offset:12672
	v_add_nc_u32_e32 v25, 0x370, v54
	v_lshlrev_b64 v[23:24], 4, v[15:16]
	ds_read_b128 v[15:18], v0 offset:14080
	v_add_co_u32 v21, vcc_lo, v1, v21
	v_lshlrev_b64 v[25:26], 4, v[25:26]
	v_add_co_ci_u32_e32 v22, vcc_lo, v2, v22, vcc_lo
	v_add_co_u32 v23, vcc_lo, v1, v23
	v_add_co_ci_u32_e32 v24, vcc_lo, v2, v24, vcc_lo
	v_add_co_u32 v25, vcc_lo, v1, v25
	v_add_co_ci_u32_e32 v26, vcc_lo, v2, v26, vcc_lo
	v_cmp_eq_u32_e32 vcc_lo, 0x57, v54
	s_waitcnt lgkmcnt(3)
	global_store_dwordx4 v[19:20], v[3:6], off
	s_waitcnt lgkmcnt(2)
	global_store_dwordx4 v[21:22], v[7:10], off
	;; [unrolled: 2-line block ×4, first 2 shown]
	s_and_b32 exec_lo, exec_lo, vcc_lo
	s_cbranch_execz .LBB0_32
; %bb.31:
	ds_read_b128 v[3:6], v0 offset:14096
	v_add_co_u32 v0, vcc_lo, 0x3800, v1
	v_add_co_ci_u32_e32 v1, vcc_lo, 0, v2, vcc_lo
	s_waitcnt lgkmcnt(0)
	global_store_dwordx4 v[0:1], v[3:6], off offset:1152
.LBB0_32:
	s_endpgm
	.section	.rodata,"a",@progbits
	.p2align	6, 0x0
	.amdhsa_kernel fft_rtc_fwd_len968_factors_2_2_2_11_11_wgs_176_tpt_88_dp_op_CI_CI_unitstride_sbrr_R2C_dirReg
		.amdhsa_group_segment_fixed_size 0
		.amdhsa_private_segment_fixed_size 12
		.amdhsa_kernarg_size 104
		.amdhsa_user_sgpr_count 6
		.amdhsa_user_sgpr_private_segment_buffer 1
		.amdhsa_user_sgpr_dispatch_ptr 0
		.amdhsa_user_sgpr_queue_ptr 0
		.amdhsa_user_sgpr_kernarg_segment_ptr 1
		.amdhsa_user_sgpr_dispatch_id 0
		.amdhsa_user_sgpr_flat_scratch_init 0
		.amdhsa_user_sgpr_private_segment_size 0
		.amdhsa_wavefront_size32 1
		.amdhsa_uses_dynamic_stack 0
		.amdhsa_system_sgpr_private_segment_wavefront_offset 1
		.amdhsa_system_sgpr_workgroup_id_x 1
		.amdhsa_system_sgpr_workgroup_id_y 0
		.amdhsa_system_sgpr_workgroup_id_z 0
		.amdhsa_system_sgpr_workgroup_info 0
		.amdhsa_system_vgpr_workitem_id 0
		.amdhsa_next_free_vgpr 256
		.amdhsa_next_free_sgpr 44
		.amdhsa_reserve_vcc 1
		.amdhsa_reserve_flat_scratch 0
		.amdhsa_float_round_mode_32 0
		.amdhsa_float_round_mode_16_64 0
		.amdhsa_float_denorm_mode_32 3
		.amdhsa_float_denorm_mode_16_64 3
		.amdhsa_dx10_clamp 1
		.amdhsa_ieee_mode 1
		.amdhsa_fp16_overflow 0
		.amdhsa_workgroup_processor_mode 1
		.amdhsa_memory_ordered 1
		.amdhsa_forward_progress 0
		.amdhsa_shared_vgpr_count 0
		.amdhsa_exception_fp_ieee_invalid_op 0
		.amdhsa_exception_fp_denorm_src 0
		.amdhsa_exception_fp_ieee_div_zero 0
		.amdhsa_exception_fp_ieee_overflow 0
		.amdhsa_exception_fp_ieee_underflow 0
		.amdhsa_exception_fp_ieee_inexact 0
		.amdhsa_exception_int_div_zero 0
	.end_amdhsa_kernel
	.text
.Lfunc_end0:
	.size	fft_rtc_fwd_len968_factors_2_2_2_11_11_wgs_176_tpt_88_dp_op_CI_CI_unitstride_sbrr_R2C_dirReg, .Lfunc_end0-fft_rtc_fwd_len968_factors_2_2_2_11_11_wgs_176_tpt_88_dp_op_CI_CI_unitstride_sbrr_R2C_dirReg
                                        ; -- End function
	.section	.AMDGPU.csdata,"",@progbits
; Kernel info:
; codeLenInByte = 12364
; NumSgprs: 46
; NumVgprs: 256
; ScratchSize: 12
; MemoryBound: 0
; FloatMode: 240
; IeeeMode: 1
; LDSByteSize: 0 bytes/workgroup (compile time only)
; SGPRBlocks: 5
; VGPRBlocks: 31
; NumSGPRsForWavesPerEU: 46
; NumVGPRsForWavesPerEU: 256
; Occupancy: 4
; WaveLimiterHint : 1
; COMPUTE_PGM_RSRC2:SCRATCH_EN: 1
; COMPUTE_PGM_RSRC2:USER_SGPR: 6
; COMPUTE_PGM_RSRC2:TRAP_HANDLER: 0
; COMPUTE_PGM_RSRC2:TGID_X_EN: 1
; COMPUTE_PGM_RSRC2:TGID_Y_EN: 0
; COMPUTE_PGM_RSRC2:TGID_Z_EN: 0
; COMPUTE_PGM_RSRC2:TIDIG_COMP_CNT: 0
	.text
	.p2alignl 6, 3214868480
	.fill 48, 4, 3214868480
	.type	__hip_cuid_23dfab6c3882749d,@object ; @__hip_cuid_23dfab6c3882749d
	.section	.bss,"aw",@nobits
	.globl	__hip_cuid_23dfab6c3882749d
__hip_cuid_23dfab6c3882749d:
	.byte	0                               ; 0x0
	.size	__hip_cuid_23dfab6c3882749d, 1

	.ident	"AMD clang version 19.0.0git (https://github.com/RadeonOpenCompute/llvm-project roc-6.4.0 25133 c7fe45cf4b819c5991fe208aaa96edf142730f1d)"
	.section	".note.GNU-stack","",@progbits
	.addrsig
	.addrsig_sym __hip_cuid_23dfab6c3882749d
	.amdgpu_metadata
---
amdhsa.kernels:
  - .args:
      - .actual_access:  read_only
        .address_space:  global
        .offset:         0
        .size:           8
        .value_kind:     global_buffer
      - .offset:         8
        .size:           8
        .value_kind:     by_value
      - .actual_access:  read_only
        .address_space:  global
        .offset:         16
        .size:           8
        .value_kind:     global_buffer
      - .actual_access:  read_only
        .address_space:  global
        .offset:         24
        .size:           8
        .value_kind:     global_buffer
      - .actual_access:  read_only
        .address_space:  global
        .offset:         32
        .size:           8
        .value_kind:     global_buffer
      - .offset:         40
        .size:           8
        .value_kind:     by_value
      - .actual_access:  read_only
        .address_space:  global
        .offset:         48
        .size:           8
        .value_kind:     global_buffer
      - .actual_access:  read_only
        .address_space:  global
        .offset:         56
        .size:           8
        .value_kind:     global_buffer
      - .offset:         64
        .size:           4
        .value_kind:     by_value
      - .actual_access:  read_only
        .address_space:  global
        .offset:         72
        .size:           8
        .value_kind:     global_buffer
      - .actual_access:  read_only
        .address_space:  global
        .offset:         80
        .size:           8
        .value_kind:     global_buffer
      - .actual_access:  read_only
        .address_space:  global
        .offset:         88
        .size:           8
        .value_kind:     global_buffer
      - .actual_access:  write_only
        .address_space:  global
        .offset:         96
        .size:           8
        .value_kind:     global_buffer
    .group_segment_fixed_size: 0
    .kernarg_segment_align: 8
    .kernarg_segment_size: 104
    .language:       OpenCL C
    .language_version:
      - 2
      - 0
    .max_flat_workgroup_size: 176
    .name:           fft_rtc_fwd_len968_factors_2_2_2_11_11_wgs_176_tpt_88_dp_op_CI_CI_unitstride_sbrr_R2C_dirReg
    .private_segment_fixed_size: 12
    .sgpr_count:     46
    .sgpr_spill_count: 0
    .symbol:         fft_rtc_fwd_len968_factors_2_2_2_11_11_wgs_176_tpt_88_dp_op_CI_CI_unitstride_sbrr_R2C_dirReg.kd
    .uniform_work_group_size: 1
    .uses_dynamic_stack: false
    .vgpr_count:     256
    .vgpr_spill_count: 2
    .wavefront_size: 32
    .workgroup_processor_mode: 1
amdhsa.target:   amdgcn-amd-amdhsa--gfx1030
amdhsa.version:
  - 1
  - 2
...

	.end_amdgpu_metadata
